;; amdgpu-corpus repo=ROCm/rocFFT kind=compiled arch=gfx906 opt=O3
	.text
	.amdgcn_target "amdgcn-amd-amdhsa--gfx906"
	.amdhsa_code_object_version 6
	.protected	fft_rtc_back_len200_factors_5_8_5_wgs_400_tpt_40_sp_op_CI_CI_sbcc_twdbase6_3step ; -- Begin function fft_rtc_back_len200_factors_5_8_5_wgs_400_tpt_40_sp_op_CI_CI_sbcc_twdbase6_3step
	.globl	fft_rtc_back_len200_factors_5_8_5_wgs_400_tpt_40_sp_op_CI_CI_sbcc_twdbase6_3step
	.p2align	8
	.type	fft_rtc_back_len200_factors_5_8_5_wgs_400_tpt_40_sp_op_CI_CI_sbcc_twdbase6_3step,@function
fft_rtc_back_len200_factors_5_8_5_wgs_400_tpt_40_sp_op_CI_CI_sbcc_twdbase6_3step: ; @fft_rtc_back_len200_factors_5_8_5_wgs_400_tpt_40_sp_op_CI_CI_sbcc_twdbase6_3step
; %bb.0:
	s_load_dwordx8 s[8:15], s[4:5], 0x8
	s_load_dwordx2 s[34:35], s[4:5], 0x28
	s_movk_i32 s0, 0xc0
	v_cmp_gt_u32_e32 vcc, s0, v0
	s_and_saveexec_b64 s[0:1], vcc
	s_cbranch_execz .LBB0_2
; %bb.1:
	v_lshlrev_b32_e32 v3, 3, v0
	s_waitcnt lgkmcnt(0)
	global_load_dwordx2 v[1:2], v3, s[8:9]
	v_add_u32_e32 v3, 0, v3
	s_waitcnt vmcnt(0)
	ds_write_b64 v3, v[1:2] offset:16000
.LBB0_2:
	s_or_b64 exec, exec, s[0:1]
	s_waitcnt lgkmcnt(0)
	s_load_dwordx2 s[30:31], s[12:13], 0x8
	s_mov_b32 s7, 0
	s_waitcnt lgkmcnt(0)
	s_add_u32 s0, s30, -1
	s_addc_u32 s1, s31, -1
	s_add_u32 s2, 0, 0x99986000
	s_addc_u32 s3, 0, 0x59
	s_mul_hi_u32 s9, s2, -10
	s_add_i32 s3, s3, 0x19999940
	s_sub_i32 s9, s9, s2
	s_mul_i32 s18, s3, -10
	s_mul_i32 s8, s2, -10
	s_add_i32 s9, s9, s18
	s_mul_hi_u32 s16, s3, s8
	s_mul_i32 s17, s3, s8
	s_mul_i32 s19, s2, s9
	s_mul_hi_u32 s8, s2, s8
	s_mul_hi_u32 s18, s2, s9
	s_add_u32 s8, s8, s19
	s_addc_u32 s18, 0, s18
	s_add_u32 s8, s8, s17
	s_mul_hi_u32 s19, s3, s9
	s_addc_u32 s8, s18, s16
	s_addc_u32 s16, s19, 0
	s_mul_i32 s9, s3, s9
	s_add_u32 s8, s8, s9
	v_mov_b32_e32 v1, s8
	s_addc_u32 s9, 0, s16
	v_add_co_u32_e32 v1, vcc, s2, v1
	s_cmp_lg_u64 vcc, 0
	s_addc_u32 s2, s3, s9
	v_readfirstlane_b32 s9, v1
	s_mul_i32 s8, s0, s2
	s_mul_hi_u32 s16, s0, s9
	s_mul_hi_u32 s3, s0, s2
	s_add_u32 s8, s16, s8
	s_addc_u32 s3, 0, s3
	s_mul_hi_u32 s17, s1, s9
	s_mul_i32 s9, s1, s9
	s_add_u32 s8, s8, s9
	s_mul_hi_u32 s16, s1, s2
	s_addc_u32 s3, s3, s17
	s_addc_u32 s8, s16, 0
	s_mul_i32 s2, s1, s2
	s_add_u32 s2, s3, s2
	s_addc_u32 s3, 0, s8
	s_add_u32 s8, s2, 1
	s_addc_u32 s9, s3, 0
	s_add_u32 s16, s2, 2
	s_mul_i32 s18, s3, 10
	s_mul_hi_u32 s19, s2, 10
	s_addc_u32 s17, s3, 0
	s_add_i32 s19, s19, s18
	s_mul_i32 s18, s2, 10
	v_mov_b32_e32 v1, s18
	v_sub_co_u32_e32 v1, vcc, s0, v1
	s_cmp_lg_u64 vcc, 0
	s_subb_u32 s0, s1, s19
	v_subrev_co_u32_e32 v2, vcc, 10, v1
	s_cmp_lg_u64 vcc, 0
	s_subb_u32 s1, s0, 0
	v_readfirstlane_b32 s18, v2
	s_cmp_gt_u32 s18, 9
	s_cselect_b32 s18, -1, 0
	s_cmp_eq_u32 s1, 0
	s_cselect_b32 s1, s18, -1
	s_cmp_lg_u32 s1, 0
	s_cselect_b32 s1, s16, s8
	s_cselect_b32 s8, s17, s9
	v_readfirstlane_b32 s9, v1
	s_cmp_gt_u32 s9, 9
	s_cselect_b32 s9, -1, 0
	s_cmp_eq_u32 s0, 0
	s_cselect_b32 s0, s9, -1
	s_cmp_lg_u32 s0, 0
	s_cselect_b32 s1, s1, s2
	s_cselect_b32 s0, s8, s3
	s_add_u32 s36, s1, 1
	s_addc_u32 s37, s0, 0
	v_mov_b32_e32 v1, s36
	v_mov_b32_e32 v2, s37
	v_cmp_lt_u64_e32 vcc, s[6:7], v[1:2]
	s_mov_b64 s[8:9], 0
	s_cbranch_vccnz .LBB0_4
; %bb.3:
	v_cvt_f32_u32_e32 v1, s36
	s_sub_i32 s0, 0, s36
	s_mov_b32 s9, s7
	v_rcp_iflag_f32_e32 v1, v1
	v_mul_f32_e32 v1, 0x4f7ffffe, v1
	v_cvt_u32_f32_e32 v1, v1
	v_readfirstlane_b32 s1, v1
	s_mul_i32 s0, s0, s1
	s_mul_hi_u32 s0, s1, s0
	s_add_i32 s1, s1, s0
	s_mul_hi_u32 s0, s6, s1
	s_mul_i32 s2, s0, s36
	s_sub_i32 s2, s6, s2
	s_add_i32 s1, s0, 1
	s_sub_i32 s3, s2, s36
	s_cmp_ge_u32 s2, s36
	s_cselect_b32 s0, s1, s0
	s_cselect_b32 s2, s3, s2
	s_add_i32 s1, s0, 1
	s_cmp_ge_u32 s2, s36
	s_cselect_b32 s8, s1, s0
.LBB0_4:
	s_mul_i32 s0, s8, s37
	s_mul_hi_u32 s1, s8, s36
	s_add_i32 s1, s1, s0
	s_mul_i32 s0, s8, s36
	s_load_dwordx4 s[20:23], s[4:5], 0x60
	s_load_dwordx2 s[28:29], s[4:5], 0x0
	s_load_dwordx4 s[24:27], s[14:15], 0x0
	s_load_dwordx4 s[16:19], s[34:35], 0x0
	s_sub_u32 s50, s6, s0
	s_subb_u32 s0, 0, s1
	s_mul_i32 s0, s0, 10
	s_mul_hi_u32 s33, s50, 10
	s_add_i32 s33, s33, s0
	s_mul_i32 s50, s50, 10
	s_waitcnt lgkmcnt(0)
	s_mul_i32 s0, s26, s33
	s_mul_hi_u32 s1, s26, s50
	s_add_i32 s0, s1, s0
	s_mul_i32 s1, s27, s50
	s_add_i32 s5, s0, s1
	s_mul_i32 s0, s18, s33
	s_mul_hi_u32 s1, s18, s50
	s_add_i32 s0, s1, s0
	s_mul_i32 s1, s19, s50
	s_add_i32 s3, s0, s1
	v_cmp_lt_u64_e64 s[0:1], s[10:11], 3
	s_mul_i32 s4, s26, s50
	s_mul_i32 s2, s18, s50
	s_and_b64 vcc, exec, s[0:1]
	s_cbranch_vccnz .LBB0_14
; %bb.5:
	s_add_u32 s38, s34, 16
	s_addc_u32 s39, s35, 0
	s_add_u32 s40, s14, 16
	s_addc_u32 s41, s15, 0
	s_add_u32 s12, s12, 16
	v_mov_b32_e32 v1, s10
	s_addc_u32 s13, s13, 0
	s_mov_b64 s[42:43], 2
	s_mov_b32 s44, 0
	v_mov_b32_e32 v2, s11
.LBB0_6:                                ; =>This Inner Loop Header: Depth=1
	s_load_dwordx2 s[46:47], s[12:13], 0x0
	s_waitcnt lgkmcnt(0)
	s_or_b64 s[0:1], s[8:9], s[46:47]
	s_mov_b32 s45, s1
	s_cmp_lg_u64 s[44:45], 0
	s_cbranch_scc0 .LBB0_11
; %bb.7:                                ;   in Loop: Header=BB0_6 Depth=1
	v_cvt_f32_u32_e32 v3, s46
	v_cvt_f32_u32_e32 v4, s47
	s_sub_u32 s0, 0, s46
	s_subb_u32 s1, 0, s47
	v_mac_f32_e32 v3, 0x4f800000, v4
	v_rcp_f32_e32 v3, v3
	v_mul_f32_e32 v3, 0x5f7ffffc, v3
	v_mul_f32_e32 v4, 0x2f800000, v3
	v_trunc_f32_e32 v4, v4
	v_mac_f32_e32 v3, 0xcf800000, v4
	v_cvt_u32_f32_e32 v4, v4
	v_cvt_u32_f32_e32 v3, v3
	v_readfirstlane_b32 s45, v4
	v_readfirstlane_b32 s48, v3
	s_mul_i32 s49, s0, s45
	s_mul_hi_u32 s52, s0, s48
	s_mul_i32 s51, s1, s48
	s_add_i32 s49, s52, s49
	s_mul_i32 s53, s0, s48
	s_add_i32 s49, s49, s51
	s_mul_hi_u32 s51, s48, s49
	s_mul_i32 s52, s48, s49
	s_mul_hi_u32 s48, s48, s53
	s_add_u32 s48, s48, s52
	s_addc_u32 s51, 0, s51
	s_mul_hi_u32 s54, s45, s53
	s_mul_i32 s53, s45, s53
	s_add_u32 s48, s48, s53
	s_mul_hi_u32 s52, s45, s49
	s_addc_u32 s48, s51, s54
	s_addc_u32 s51, s52, 0
	s_mul_i32 s49, s45, s49
	s_add_u32 s48, s48, s49
	s_addc_u32 s49, 0, s51
	v_add_co_u32_e32 v3, vcc, s48, v3
	s_cmp_lg_u64 vcc, 0
	s_addc_u32 s45, s45, s49
	v_readfirstlane_b32 s49, v3
	s_mul_i32 s48, s0, s45
	s_mul_hi_u32 s51, s0, s49
	s_add_i32 s48, s51, s48
	s_mul_i32 s1, s1, s49
	s_add_i32 s48, s48, s1
	s_mul_i32 s0, s0, s49
	s_mul_hi_u32 s51, s45, s0
	s_mul_i32 s52, s45, s0
	s_mul_i32 s54, s49, s48
	s_mul_hi_u32 s0, s49, s0
	s_mul_hi_u32 s53, s49, s48
	s_add_u32 s0, s0, s54
	s_addc_u32 s49, 0, s53
	s_add_u32 s0, s0, s52
	s_mul_hi_u32 s1, s45, s48
	s_addc_u32 s0, s49, s51
	s_addc_u32 s1, s1, 0
	s_mul_i32 s48, s45, s48
	s_add_u32 s0, s0, s48
	s_addc_u32 s1, 0, s1
	v_add_co_u32_e32 v3, vcc, s0, v3
	s_cmp_lg_u64 vcc, 0
	s_addc_u32 s0, s45, s1
	v_readfirstlane_b32 s48, v3
	s_mul_i32 s45, s8, s0
	s_mul_hi_u32 s49, s8, s48
	s_mul_hi_u32 s1, s8, s0
	s_add_u32 s45, s49, s45
	s_addc_u32 s1, 0, s1
	s_mul_hi_u32 s51, s9, s48
	s_mul_i32 s48, s9, s48
	s_add_u32 s45, s45, s48
	s_mul_hi_u32 s49, s9, s0
	s_addc_u32 s1, s1, s51
	s_addc_u32 s45, s49, 0
	s_mul_i32 s0, s9, s0
	s_add_u32 s48, s1, s0
	s_addc_u32 s45, 0, s45
	s_mul_i32 s0, s46, s45
	s_mul_hi_u32 s1, s46, s48
	s_add_i32 s0, s1, s0
	s_mul_i32 s1, s47, s48
	s_add_i32 s49, s0, s1
	s_mul_i32 s1, s46, s48
	v_mov_b32_e32 v3, s1
	s_sub_i32 s0, s9, s49
	v_sub_co_u32_e32 v3, vcc, s8, v3
	s_cmp_lg_u64 vcc, 0
	s_subb_u32 s51, s0, s47
	v_subrev_co_u32_e64 v4, s[0:1], s46, v3
	s_cmp_lg_u64 s[0:1], 0
	s_subb_u32 s0, s51, 0
	s_cmp_ge_u32 s0, s47
	v_readfirstlane_b32 s51, v4
	s_cselect_b32 s1, -1, 0
	s_cmp_ge_u32 s51, s46
	s_cselect_b32 s51, -1, 0
	s_cmp_eq_u32 s0, s47
	s_cselect_b32 s0, s51, s1
	s_add_u32 s1, s48, 1
	s_addc_u32 s51, s45, 0
	s_add_u32 s52, s48, 2
	s_addc_u32 s53, s45, 0
	s_cmp_lg_u32 s0, 0
	s_cselect_b32 s0, s52, s1
	s_cselect_b32 s1, s53, s51
	s_cmp_lg_u64 vcc, 0
	s_subb_u32 s49, s9, s49
	s_cmp_ge_u32 s49, s47
	v_readfirstlane_b32 s52, v3
	s_cselect_b32 s51, -1, 0
	s_cmp_ge_u32 s52, s46
	s_cselect_b32 s52, -1, 0
	s_cmp_eq_u32 s49, s47
	s_cselect_b32 s49, s52, s51
	s_cmp_lg_u32 s49, 0
	s_cselect_b32 s1, s1, s45
	s_cselect_b32 s0, s0, s48
	s_cbranch_execnz .LBB0_9
.LBB0_8:                                ;   in Loop: Header=BB0_6 Depth=1
	v_cvt_f32_u32_e32 v3, s46
	s_sub_i32 s0, 0, s46
	v_rcp_iflag_f32_e32 v3, v3
	v_mul_f32_e32 v3, 0x4f7ffffe, v3
	v_cvt_u32_f32_e32 v3, v3
	v_readfirstlane_b32 s1, v3
	s_mul_i32 s0, s0, s1
	s_mul_hi_u32 s0, s1, s0
	s_add_i32 s1, s1, s0
	s_mul_hi_u32 s0, s8, s1
	s_mul_i32 s45, s0, s46
	s_sub_i32 s45, s8, s45
	s_add_i32 s1, s0, 1
	s_sub_i32 s48, s45, s46
	s_cmp_ge_u32 s45, s46
	s_cselect_b32 s0, s1, s0
	s_cselect_b32 s45, s48, s45
	s_add_i32 s1, s0, 1
	s_cmp_ge_u32 s45, s46
	s_cselect_b32 s0, s1, s0
	s_mov_b32 s1, s44
.LBB0_9:                                ;   in Loop: Header=BB0_6 Depth=1
	s_mul_i32 s37, s46, s37
	s_mul_hi_u32 s45, s46, s36
	s_add_i32 s37, s45, s37
	s_mul_i32 s45, s47, s36
	s_add_i32 s37, s37, s45
	s_mul_i32 s45, s0, s47
	s_mul_hi_u32 s47, s0, s46
	s_load_dwordx2 s[48:49], s[40:41], 0x0
	s_add_i32 s45, s47, s45
	s_mul_i32 s47, s1, s46
	s_mul_i32 s36, s46, s36
	s_add_i32 s45, s45, s47
	s_mul_i32 s46, s0, s46
	s_sub_u32 s46, s8, s46
	s_subb_u32 s45, s9, s45
	s_waitcnt lgkmcnt(0)
	s_mul_i32 s8, s48, s45
	s_mul_hi_u32 s9, s48, s46
	s_add_i32 s47, s9, s8
	s_load_dwordx2 s[8:9], s[38:39], 0x0
	s_mul_i32 s49, s49, s46
	s_add_i32 s47, s47, s49
	s_mul_i32 s48, s48, s46
	s_add_u32 s4, s48, s4
	s_addc_u32 s5, s47, s5
	s_waitcnt lgkmcnt(0)
	s_mul_i32 s45, s8, s45
	s_mul_hi_u32 s47, s8, s46
	s_add_i32 s45, s47, s45
	s_mul_i32 s9, s9, s46
	s_add_i32 s45, s45, s9
	s_mul_i32 s8, s8, s46
	s_add_u32 s2, s8, s2
	s_addc_u32 s3, s45, s3
	s_add_u32 s42, s42, 1
	s_addc_u32 s43, s43, 0
	;; [unrolled: 2-line block ×4, first 2 shown]
	v_cmp_ge_u64_e32 vcc, s[42:43], v[1:2]
	s_add_u32 s12, s12, 8
	s_addc_u32 s13, s13, 0
	s_cbranch_vccnz .LBB0_12
; %bb.10:                               ;   in Loop: Header=BB0_6 Depth=1
	s_mov_b64 s[8:9], s[0:1]
	s_branch .LBB0_6
.LBB0_11:                               ;   in Loop: Header=BB0_6 Depth=1
                                        ; implicit-def: $sgpr0_sgpr1
	s_branch .LBB0_8
.LBB0_12:
	v_mov_b32_e32 v1, s36
	v_mov_b32_e32 v2, s37
	v_cmp_lt_u64_e32 vcc, s[6:7], v[1:2]
	s_mov_b64 s[8:9], 0
	s_cbranch_vccnz .LBB0_14
; %bb.13:
	v_cvt_f32_u32_e32 v1, s36
	s_sub_i32 s0, 0, s36
	v_rcp_iflag_f32_e32 v1, v1
	v_mul_f32_e32 v1, 0x4f7ffffe, v1
	v_cvt_u32_f32_e32 v1, v1
	v_readfirstlane_b32 s1, v1
	s_mul_i32 s0, s0, s1
	s_mul_hi_u32 s0, s1, s0
	s_add_i32 s1, s1, s0
	s_mul_hi_u32 s0, s6, s1
	s_mul_i32 s7, s0, s36
	s_sub_i32 s6, s6, s7
	s_add_i32 s1, s0, 1
	s_sub_i32 s7, s6, s36
	s_cmp_ge_u32 s6, s36
	s_cselect_b32 s0, s1, s0
	s_cselect_b32 s6, s7, s6
	s_add_i32 s1, s0, 1
	s_cmp_ge_u32 s6, s36
	s_cselect_b32 s8, s1, s0
.LBB0_14:
	s_lshl_b64 s[12:13], s[10:11], 3
	s_mov_b32 s1, 0x1999999a
	s_add_u32 s6, s34, s12
	v_mul_hi_u32 v16, v0, s1
	s_addc_u32 s7, s35, s13
	s_add_u32 s0, s50, 10
	v_mov_b32_e32 v1, s30
	s_addc_u32 s1, s33, 0
	v_mov_b32_e32 v2, s31
	v_cmp_le_u64_e32 vcc, s[0:1], v[1:2]
	v_mul_u32_u24_e32 v1, 10, v16
	v_sub_u32_e32 v18, v0, v1
	v_mov_b32_e32 v2, s33
	v_add_co_u32_e64 v1, s[0:1], s50, v18
	v_addc_co_u32_e64 v2, s[0:1], 0, v2, s[0:1]
	v_cmp_gt_u64_e64 s[0:1], s[30:31], v[1:2]
	v_lshlrev_b32_e32 v19, 3, v16
	s_or_b64 s[0:1], vcc, s[0:1]
	v_add_u32_e32 v17, 40, v16
	s_and_saveexec_b64 s[10:11], s[0:1]
	s_cbranch_execz .LBB0_16
; %bb.15:
	s_add_u32 s12, s14, s12
	s_addc_u32 s13, s15, s13
	s_load_dwordx2 s[12:13], s[12:13], 0x0
	v_mad_u64_u32 v[1:2], s[14:15], s26, v18, 0
	v_mad_u64_u32 v[3:4], s[14:15], s24, v16, 0
	s_waitcnt lgkmcnt(0)
	s_mul_i32 s9, s13, s8
	s_mul_hi_u32 s13, s12, s8
	s_add_i32 s13, s13, s9
	s_mul_i32 s12, s12, s8
	v_mad_u64_u32 v[5:6], s[14:15], s27, v18, v[2:3]
	v_mov_b32_e32 v2, v4
	s_lshl_b64 s[12:13], s[12:13], 3
	v_mad_u64_u32 v[6:7], s[14:15], s25, v16, v[2:3]
	s_add_u32 s9, s20, s12
	s_addc_u32 s12, s21, s13
	s_lshl_b64 s[4:5], s[4:5], 3
	s_add_u32 s9, s9, s4
	s_addc_u32 s4, s12, s5
	v_mov_b32_e32 v2, v5
	v_mov_b32_e32 v4, v6
	;; [unrolled: 1-line block ×3, first 2 shown]
	v_mad_u64_u32 v[5:6], s[4:5], s24, v17, 0
	v_lshlrev_b64 v[1:2], 3, v[1:2]
	v_add_u32_e32 v9, 0x50, v16
	v_add_co_u32_e32 v15, vcc, s9, v1
	v_addc_co_u32_e32 v24, vcc, v7, v2, vcc
	v_lshlrev_b64 v[1:2], 3, v[3:4]
	v_mov_b32_e32 v3, v6
	v_mad_u64_u32 v[3:4], s[4:5], s25, v17, v[3:4]
	v_mad_u64_u32 v[7:8], s[4:5], s24, v9, 0
	v_mov_b32_e32 v6, v3
	v_lshlrev_b64 v[3:4], 3, v[5:6]
	v_mov_b32_e32 v5, v8
	v_mad_u64_u32 v[5:6], s[4:5], s25, v9, v[5:6]
	v_add_u32_e32 v11, 0x78, v16
	v_mad_u64_u32 v[9:10], s[4:5], s24, v11, 0
	v_mov_b32_e32 v8, v5
	v_lshlrev_b64 v[5:6], 3, v[7:8]
	v_mov_b32_e32 v7, v10
	v_mad_u64_u32 v[7:8], s[4:5], s25, v11, v[7:8]
	v_add_u32_e32 v11, 0xa0, v16
	v_add_co_u32_e32 v1, vcc, v15, v1
	v_mov_b32_e32 v10, v7
	v_lshlrev_b64 v[7:8], 3, v[9:10]
	v_mad_u64_u32 v[9:10], s[4:5], s24, v11, 0
	v_addc_co_u32_e32 v2, vcc, v24, v2, vcc
	v_add_co_u32_e32 v3, vcc, v15, v3
	v_addc_co_u32_e32 v4, vcc, v24, v4, vcc
	v_mad_u64_u32 v[10:11], s[4:5], s25, v11, v[10:11]
	v_add_co_u32_e32 v5, vcc, v15, v5
	v_addc_co_u32_e32 v6, vcc, v24, v6, vcc
	v_add_co_u32_e32 v7, vcc, v15, v7
	v_addc_co_u32_e32 v8, vcc, v24, v8, vcc
	global_load_dwordx2 v[11:12], v[1:2], off
	global_load_dwordx2 v[13:14], v[3:4], off
	;; [unrolled: 1-line block ×4, first 2 shown]
	v_lshlrev_b64 v[1:2], 3, v[9:10]
	s_movk_i32 s4, 0x640
	v_add_co_u32_e32 v1, vcc, v15, v1
	v_addc_co_u32_e32 v2, vcc, v24, v2, vcc
	global_load_dwordx2 v[1:2], v[1:2], off
	v_mul_lo_u32 v3, v18, s4
	v_add3_u32 v3, 0, v3, v19
	s_waitcnt vmcnt(3)
	ds_write2_b64 v3, v[11:12], v[13:14] offset1:40
	s_waitcnt vmcnt(1)
	ds_write2_b64 v3, v[20:21], v[22:23] offset0:80 offset1:120
	s_waitcnt vmcnt(0)
	ds_write_b64 v3, v[1:2] offset:1280
.LBB0_16:
	s_or_b64 exec, exec, s[10:11]
	s_mov_b32 s4, 0x6666667
	v_mul_hi_u32 v5, v0, s4
	s_add_u32 s4, 0, 0x99986000
	s_addc_u32 s5, 0, 0x59
	s_add_i32 s5, s5, 0x19999940
	s_mul_hi_u32 s12, s4, -10
	s_sub_i32 s12, s12, s4
	s_mul_i32 s13, s5, -10
	s_mul_i32 s9, s4, -10
	s_add_i32 s12, s12, s13
	s_mul_hi_u32 s10, s5, s9
	s_mul_i32 s11, s5, s9
	s_mul_i32 s14, s4, s12
	s_mul_hi_u32 s9, s4, s9
	s_mul_hi_u32 s13, s4, s12
	s_add_u32 s9, s9, s14
	s_addc_u32 s13, 0, s13
	s_add_u32 s9, s9, s11
	s_mul_hi_u32 s14, s5, s12
	s_addc_u32 s9, s13, s10
	s_addc_u32 s10, s14, 0
	s_mul_i32 s11, s5, s12
	v_mov_b32_e32 v1, s33
	v_add_co_u32_e32 v21, vcc, s50, v5
	s_add_u32 s9, s9, s11
	v_addc_co_u32_e32 v6, vcc, 0, v1, vcc
	v_mov_b32_e32 v1, s9
	s_addc_u32 s10, 0, s10
	v_add_co_u32_e32 v3, vcc, s4, v1
	s_cmp_lg_u64 vcc, 0
	s_addc_u32 s9, s5, s10
	v_mad_u64_u32 v[1:2], s[4:5], v21, s9, 0
	v_mul_hi_u32 v4, v21, v3
	v_add_co_u32_e32 v7, vcc, v4, v1
	v_addc_co_u32_e32 v8, vcc, 0, v2, vcc
	v_mad_u64_u32 v[1:2], s[4:5], v6, v3, 0
	v_mad_u64_u32 v[3:4], s[4:5], v6, s9, 0
	v_add_co_u32_e32 v1, vcc, v7, v1
	v_addc_co_u32_e32 v1, vcc, v8, v2, vcc
	v_addc_co_u32_e32 v2, vcc, 0, v4, vcc
	v_add_co_u32_e32 v1, vcc, v1, v3
	v_addc_co_u32_e32 v3, vcc, 0, v2, vcc
	v_mad_u64_u32 v[1:2], s[4:5], v1, 10, 0
	s_load_dwordx2 s[4:5], s[6:7], 0x0
	s_waitcnt lgkmcnt(0)
	v_mad_u64_u32 v[2:3], s[6:7], v3, 10, v[2:3]
	v_sub_co_u32_e32 v1, vcc, v21, v1
	v_subb_co_u32_e32 v2, vcc, v6, v2, vcc
	v_subrev_co_u32_e32 v3, vcc, 10, v1
	v_subbrev_co_u32_e32 v4, vcc, 0, v2, vcc
	v_cmp_lt_u32_e32 vcc, 9, v3
	v_cndmask_b32_e64 v6, 0, -1, vcc
	v_cmp_eq_u32_e32 vcc, 0, v4
	v_cndmask_b32_e32 v4, -1, v6, vcc
	v_add_u32_e32 v6, -10, v3
	v_cmp_ne_u32_e32 vcc, 0, v4
	v_cndmask_b32_e32 v3, v3, v6, vcc
	v_cmp_lt_u32_e32 vcc, 9, v1
	v_cndmask_b32_e64 v4, 0, -1, vcc
	v_cmp_eq_u32_e32 vcc, 0, v2
	v_cndmask_b32_e32 v2, -1, v4, vcc
	v_cmp_ne_u32_e32 vcc, 0, v2
	v_cndmask_b32_e32 v1, v1, v3, vcc
	v_mul_u32_u24_e32 v2, 40, v5
	v_mul_u32_u24_e32 v1, 0xc8, v1
	v_sub_u32_e32 v22, v0, v2
	v_lshlrev_b32_e32 v24, 3, v1
	v_lshlrev_b32_e32 v2, 3, v22
	v_add3_u32 v23, 0, v24, v2
	v_add3_u32 v20, 0, v2, v24
	s_barrier
	ds_read_b64 v[0:1], v23
	ds_read2_b64 v[2:5], v20 offset0:40 offset1:80
	ds_read2_b64 v[25:28], v20 offset0:120 offset1:160
	v_cmp_gt_u32_e32 vcc, 25, v22
	s_waitcnt lgkmcnt(0)
	s_barrier
	v_add_f32_e32 v6, v0, v2
	v_add_f32_e32 v7, v4, v25
	v_sub_f32_e32 v10, v2, v4
	v_add_f32_e32 v11, v2, v27
	v_sub_f32_e32 v12, v4, v2
	;; [unrolled: 2-line block ×3, first 2 shown]
	v_sub_f32_e32 v2, v27, v25
	v_sub_f32_e32 v8, v3, v28
	;; [unrolled: 1-line block ×3, first 2 shown]
	v_add_f32_e32 v13, v13, v5
	v_add_f32_e32 v14, v5, v26
	v_sub_f32_e32 v29, v3, v5
	v_add_f32_e32 v30, v3, v28
	v_sub_f32_e32 v5, v5, v3
	v_add_f32_e32 v3, v10, v2
	v_fma_f32 v2, -0.5, v7, v0
	v_mov_b32_e32 v10, v2
	v_fmac_f32_e32 v10, 0xbf737871, v8
	v_fmac_f32_e32 v2, 0x3f737871, v8
	;; [unrolled: 1-line block ×6, first 2 shown]
	v_fma_f32 v0, -0.5, v11, v0
	v_sub_f32_e32 v3, v25, v27
	v_add_f32_e32 v3, v12, v3
	v_mov_b32_e32 v12, v0
	v_fmac_f32_e32 v12, 0x3f737871, v9
	v_fmac_f32_e32 v0, 0xbf737871, v9
	v_add_f32_e32 v6, v6, v4
	v_fmac_f32_e32 v12, 0xbf167918, v8
	v_fmac_f32_e32 v0, 0x3f167918, v8
	;; [unrolled: 1-line block ×4, first 2 shown]
	v_add_f32_e32 v3, v6, v25
	v_add_f32_e32 v8, v3, v27
	v_fma_f32 v3, -0.5, v14, v1
	v_add_f32_e32 v6, v13, v26
	v_mov_b32_e32 v11, v3
	v_sub_f32_e32 v4, v4, v25
	v_add_f32_e32 v9, v6, v28
	v_sub_f32_e32 v6, v28, v26
	v_fmac_f32_e32 v11, 0x3f737871, v15
	v_fmac_f32_e32 v3, 0xbf737871, v15
	v_fmac_f32_e32 v1, -0.5, v30
	v_add_f32_e32 v6, v29, v6
	v_fmac_f32_e32 v11, 0x3f167918, v4
	v_fmac_f32_e32 v3, 0xbf167918, v4
	v_mov_b32_e32 v13, v1
	v_fmac_f32_e32 v11, 0x3e9e377a, v6
	v_fmac_f32_e32 v3, 0x3e9e377a, v6
	;; [unrolled: 1-line block ×3, first 2 shown]
	v_sub_f32_e32 v6, v26, v28
	v_fmac_f32_e32 v1, 0x3f737871, v4
	v_fmac_f32_e32 v13, 0x3f167918, v15
	v_add_f32_e32 v5, v5, v6
	v_fmac_f32_e32 v1, 0xbf167918, v15
	v_fmac_f32_e32 v13, 0x3e9e377a, v5
	;; [unrolled: 1-line block ×3, first 2 shown]
	v_lshl_add_u32 v4, v22, 5, v20
	ds_write2_b64 v4, v[8:9], v[10:11] offset1:1
	ds_write2_b64 v4, v[12:13], v[0:1] offset0:2 offset1:3
	ds_write_b64 v4, v[2:3] offset:32
	s_waitcnt lgkmcnt(0)
	s_barrier
	s_waitcnt lgkmcnt(0)
                                        ; implicit-def: $vgpr15
                                        ; implicit-def: $vgpr7
	s_and_saveexec_b64 s[6:7], vcc
	s_cbranch_execz .LBB0_18
; %bb.17:
	ds_read2_b64 v[0:3], v20 offset0:75 offset1:100
	ds_read2_b64 v[10:13], v20 offset0:25 offset1:50
	;; [unrolled: 1-line block ×3, first 2 shown]
	ds_read_b64 v[8:9], v23
	ds_read_b64 v[14:15], v20 offset:1400
.LBB0_18:
	s_or_b64 exec, exec, s[6:7]
	s_waitcnt lgkmcnt(0)
	s_barrier
	s_and_saveexec_b64 s[6:7], vcc
	s_cbranch_execz .LBB0_20
; %bb.19:
	s_movk_i32 s9, 0xcd
	v_mul_lo_u16_sdwa v25, v22, s9 dst_sel:DWORD dst_unused:UNUSED_PAD src0_sel:BYTE_0 src1_sel:DWORD
	v_lshrrev_b16_e32 v31, 10, v25
	v_mul_lo_u16_e32 v25, 5, v31
	v_sub_u16_e32 v32, v22, v25
	v_mov_b32_e32 v25, 7
	v_mul_u32_u24_sdwa v25, v32, v25 dst_sel:DWORD dst_unused:UNUSED_PAD src0_sel:BYTE_0 src1_sel:DWORD
	v_lshlrev_b32_e32 v33, 3, v25
	global_load_dwordx4 v[25:28], v33, s[28:29] offset:32
	global_load_dwordx2 v[29:30], v33, s[28:29] offset:48
	s_waitcnt vmcnt(1)
	v_mul_f32_e32 v36, v5, v26
	v_mul_f32_e32 v34, v7, v28
	;; [unrolled: 1-line block ×3, first 2 shown]
	v_fmac_f32_e32 v36, v4, v25
	v_mul_f32_e32 v4, v6, v28
	v_fmac_f32_e32 v34, v6, v27
	v_fma_f32 v35, v5, v25, -v35
	v_fma_f32 v37, v7, v27, -v4
	global_load_dwordx4 v[4:7], v33, s[28:29]
	global_load_dwordx4 v[25:28], v33, s[28:29] offset:16
	s_waitcnt vmcnt(1)
	v_mul_f32_e32 v33, v10, v5
	v_mul_f32_e32 v5, v11, v5
	v_fma_f32 v33, v11, v4, -v33
	v_fmac_f32_e32 v5, v10, v4
	v_mul_f32_e32 v4, v13, v7
	v_mul_f32_e32 v7, v12, v7
	v_fmac_f32_e32 v4, v12, v6
	v_fma_f32 v6, v13, v6, -v7
	s_waitcnt vmcnt(0)
	v_mul_f32_e32 v7, v2, v28
	v_mul_f32_e32 v10, v3, v28
	;; [unrolled: 1-line block ×4, first 2 shown]
	v_fma_f32 v3, v3, v27, -v7
	v_fmac_f32_e32 v10, v2, v27
	v_mul_f32_e32 v2, v15, v30
	v_mul_f32_e32 v7, v14, v30
	v_fmac_f32_e32 v11, v0, v25
	v_fma_f32 v0, v1, v25, -v12
	v_fmac_f32_e32 v2, v14, v29
	v_fma_f32 v1, v15, v29, -v7
	v_sub_f32_e32 v3, v9, v3
	v_sub_f32_e32 v7, v4, v34
	;; [unrolled: 1-line block ×8, first 2 shown]
	v_fma_f32 v9, v9, 2.0, -v3
	v_fma_f32 v8, v8, 2.0, -v10
	;; [unrolled: 1-line block ×3, first 2 shown]
	v_sub_f32_e32 v25, v12, v2
	v_fma_f32 v2, v4, 2.0, -v7
	v_fma_f32 v4, v6, 2.0, -v14
	v_add_f32_e32 v14, v10, v14
	v_fma_f32 v5, v5, 2.0, -v13
	v_fma_f32 v6, v33, 2.0, -v12
	v_fma_f32 v0, v0, 2.0, -v1
	v_sub_f32_e32 v15, v3, v7
	v_add_f32_e32 v7, v13, v1
	v_sub_f32_e32 v26, v9, v4
	v_sub_f32_e32 v4, v5, v11
	;; [unrolled: 1-line block ×4, first 2 shown]
	v_mov_b32_e32 v0, v14
	v_mov_b32_e32 v1, v15
	v_fma_f32 v27, v3, 2.0, -v15
	v_fma_f32 v28, v10, 2.0, -v14
	v_fmac_f32_e32 v0, 0x3f3504f3, v7
	v_fma_f32 v13, v13, 2.0, -v7
	v_fma_f32 v12, v12, 2.0, -v25
	v_sub_f32_e32 v3, v26, v4
	v_fma_f32 v29, v5, 2.0, -v4
	v_fmac_f32_e32 v1, 0x3f3504f3, v25
	v_mov_b32_e32 v5, v27
	v_mov_b32_e32 v4, v28
	v_fmac_f32_e32 v0, 0x3f3504f3, v25
	v_mul_u32_u24_e32 v25, 40, v31
	v_fma_f32 v10, v6, 2.0, -v2
	v_fma_f32 v30, v9, 2.0, -v26
	;; [unrolled: 1-line block ×3, first 2 shown]
	v_fmac_f32_e32 v5, 0xbf3504f3, v12
	v_fmac_f32_e32 v4, 0xbf3504f3, v13
	v_or_b32_sdwa v25, v25, v32 dst_sel:DWORD dst_unused:UNUSED_PAD src0_sel:DWORD src1_sel:BYTE_0
	v_add_f32_e32 v2, v11, v2
	v_fmac_f32_e32 v1, 0xbf3504f3, v7
	v_sub_f32_e32 v9, v30, v10
	v_sub_f32_e32 v8, v33, v29
	v_fmac_f32_e32 v5, 0xbf3504f3, v13
	v_fmac_f32_e32 v4, 0x3f3504f3, v12
	v_lshlrev_b32_e32 v25, 3, v25
	v_fma_f32 v6, v11, 2.0, -v2
	v_fma_f32 v11, v15, 2.0, -v1
	;; [unrolled: 1-line block ×7, first 2 shown]
	v_add3_u32 v24, 0, v25, v24
	v_fma_f32 v7, v26, 2.0, -v3
	ds_write2_b64 v24, v[12:13], v[14:15] offset1:5
	ds_write2_b64 v24, v[6:7], v[10:11] offset0:10 offset1:15
	ds_write2_b64 v24, v[8:9], v[4:5] offset0:20 offset1:25
	;; [unrolled: 1-line block ×3, first 2 shown]
.LBB0_20:
	s_or_b64 exec, exec, s[6:7]
	v_lshlrev_b32_e32 v0, 2, v22
	v_mov_b32_e32 v1, 0
	v_lshlrev_b64 v[0:1], 3, v[0:1]
	v_mov_b32_e32 v2, s29
	v_add_co_u32_e32 v0, vcc, s28, v0
	v_addc_co_u32_e32 v1, vcc, v2, v1, vcc
	s_waitcnt lgkmcnt(0)
	s_barrier
	global_load_dwordx4 v[2:5], v[0:1], off offset:280
	global_load_dwordx4 v[6:9], v[0:1], off offset:296
	ds_read2_b64 v[10:13], v20 offset0:40 offset1:80
	ds_read2_b32 v[0:1], v23 offset1:1
	ds_read2_b64 v[23:26], v20 offset0:120 offset1:160
	v_mul_lo_u32 v14, v22, v21
	s_add_i32 s6, 0, 0x3e80
	s_waitcnt vmcnt(1) lgkmcnt(2)
	v_mul_f32_e32 v15, v3, v11
	v_mul_f32_e32 v3, v3, v10
	;; [unrolled: 1-line block ×4, first 2 shown]
	s_waitcnt vmcnt(0) lgkmcnt(0)
	v_mul_f32_e32 v27, v7, v24
	v_mul_f32_e32 v7, v7, v23
	;; [unrolled: 1-line block ×4, first 2 shown]
	v_fmac_f32_e32 v15, v2, v10
	v_fma_f32 v2, v2, v11, -v3
	v_fmac_f32_e32 v22, v4, v12
	v_fma_f32 v3, v4, v13, -v5
	;; [unrolled: 2-line block ×4, first 2 shown]
	v_add_f32_e32 v6, v15, v0
	v_add_f32_e32 v7, v22, v27
	;; [unrolled: 1-line block ×3, first 2 shown]
	v_sub_f32_e32 v13, v22, v15
	v_sub_f32_e32 v23, v27, v28
	v_add_f32_e32 v25, v3, v4
	v_add_f32_e32 v31, v2, v5
	v_sub_f32_e32 v10, v15, v22
	v_sub_f32_e32 v11, v28, v27
	v_add_f32_e32 v24, v1, v2
	v_sub_f32_e32 v26, v22, v27
	v_sub_f32_e32 v29, v2, v3
	;; [unrolled: 1-line block ×3, first 2 shown]
	v_add_f32_e32 v6, v6, v22
	v_fma_f32 v22, -0.5, v7, v0
	v_fma_f32 v33, -0.5, v12, v0
	v_add_f32_e32 v0, v13, v23
	v_fma_f32 v23, -0.5, v25, v1
	v_fmac_f32_e32 v1, -0.5, v31
	v_add_f32_e32 v7, v10, v11
	v_add_f32_e32 v10, v29, v30
	v_mov_b32_e32 v29, v1
	v_sub_f32_e32 v8, v2, v5
	v_sub_f32_e32 v15, v15, v28
	;; [unrolled: 1-line block ×4, first 2 shown]
	v_fmac_f32_e32 v1, 0x3f737871, v26
	v_fmac_f32_e32 v29, 0xbf737871, v26
	v_sub_f32_e32 v9, v3, v4
	v_add_f32_e32 v2, v2, v32
	v_mov_b32_e32 v25, v33
	v_fmac_f32_e32 v1, 0xbf167918, v15
	v_fmac_f32_e32 v29, 0x3f167918, v15
	v_fmac_f32_e32 v33, 0xbf737871, v9
	v_fmac_f32_e32 v25, 0x3f737871, v9
	v_fmac_f32_e32 v29, 0x3e9e377a, v2
	v_fmac_f32_e32 v1, 0x3e9e377a, v2
	v_lshrrev_b32_e32 v2, 3, v14
	v_add_f32_e32 v3, v24, v3
	v_add_f32_e32 v6, v6, v27
	v_mov_b32_e32 v27, v23
	v_fmac_f32_e32 v33, 0x3f167918, v8
	v_fmac_f32_e32 v25, 0xbf167918, v8
	v_and_b32_e32 v2, 0x1f8, v2
	v_add_f32_e32 v3, v3, v4
	v_fmac_f32_e32 v23, 0xbf737871, v15
	v_fmac_f32_e32 v27, 0x3f737871, v15
	;; [unrolled: 1-line block ×4, first 2 shown]
	v_and_b32_e32 v0, 63, v14
	v_add_u32_e32 v4, s6, v2
	v_mul_lo_u32 v15, v21, 40
	v_lshrrev_b32_e32 v2, 9, v14
	v_lshl_add_u32 v0, v0, 3, 0
	v_and_b32_e32 v2, 0x1f8, v2
	v_add_f32_e32 v11, v6, v28
	v_add_f32_e32 v12, v3, v5
	v_add_u32_e32 v6, s6, v2
	ds_read_b64 v[2:3], v0 offset:16000
	ds_read_b64 v[4:5], v4 offset:512
	v_mov_b32_e32 v24, v22
	v_fmac_f32_e32 v23, 0xbf167918, v26
	v_fmac_f32_e32 v27, 0x3f167918, v26
	;; [unrolled: 1-line block ×6, first 2 shown]
	v_add_u32_e32 v10, v14, v15
	v_fmac_f32_e32 v22, 0x3f167918, v9
	v_fmac_f32_e32 v24, 0xbf167918, v9
	v_and_b32_e32 v0, 63, v10
	v_fmac_f32_e32 v22, 0x3e9e377a, v7
	v_fmac_f32_e32 v24, 0x3e9e377a, v7
	v_lshl_add_u32 v0, v0, 3, 0
	ds_read_b64 v[6:7], v6 offset:1024
	ds_read_b64 v[8:9], v0 offset:16000
	s_waitcnt lgkmcnt(2)
	v_mul_f32_e32 v0, v3, v5
	v_fma_f32 v0, v2, v4, -v0
	v_mul_f32_e32 v2, v2, v5
	v_fmac_f32_e32 v2, v3, v4
	s_waitcnt lgkmcnt(1)
	v_mul_f32_e32 v3, v2, v7
	v_fma_f32 v3, v6, v0, -v3
	v_mul_f32_e32 v0, v0, v7
	v_fmac_f32_e32 v0, v6, v2
	v_mul_f32_e32 v2, v12, v0
	v_mul_f32_e32 v0, v11, v0
	v_lshrrev_b32_e32 v4, 9, v10
	v_fmac_f32_e32 v2, v11, v3
	v_fma_f32 v3, v12, v3, -v0
	v_lshrrev_b32_e32 v0, 3, v10
	v_and_b32_e32 v4, 0x1f8, v4
	v_add_u32_e32 v14, v10, v15
	v_and_b32_e32 v0, 0x1f8, v0
	v_add_u32_e32 v6, s6, v4
	;; [unrolled: 2-line block ×3, first 2 shown]
	v_lshl_add_u32 v10, v4, 3, 0
	v_lshrrev_b32_e32 v4, 3, v14
	v_and_b32_e32 v7, 0x1f8, v4
	ds_read_b64 v[4:5], v0 offset:512
	v_add_u32_e32 v0, s6, v7
	ds_read_b64 v[6:7], v6 offset:1024
	ds_read_b64 v[10:11], v10 offset:16000
	;; [unrolled: 1-line block ×3, first 2 shown]
	s_waitcnt lgkmcnt(3)
	v_mul_f32_e32 v0, v9, v5
	v_mul_f32_e32 v5, v8, v5
	v_fmac_f32_e32 v5, v9, v4
	v_fma_f32 v0, v8, v4, -v0
	s_waitcnt lgkmcnt(2)
	v_mul_f32_e32 v4, v5, v7
	v_fma_f32 v8, v6, v0, -v4
	v_mul_f32_e32 v0, v0, v7
	v_fmac_f32_e32 v0, v6, v5
	v_lshrrev_b32_e32 v6, 9, v14
	v_add_u32_e32 v14, v14, v15
	v_mul_f32_e32 v4, v27, v0
	v_mul_f32_e32 v0, v24, v0
	v_and_b32_e32 v7, 63, v14
	v_fmac_f32_e32 v4, v24, v8
	v_fma_f32 v5, v27, v8, -v0
	v_lshl_add_u32 v8, v7, 3, 0
	v_lshrrev_b32_e32 v7, 3, v14
	s_waitcnt lgkmcnt(0)
	v_mul_f32_e32 v0, v11, v13
	v_and_b32_e32 v6, 0x1f8, v6
	v_and_b32_e32 v7, 0x1f8, v7
	v_fma_f32 v0, v10, v12, -v0
	v_mul_f32_e32 v21, v10, v13
	v_add_u32_e32 v6, s6, v6
	v_add_u32_e32 v10, s6, v7
	v_lshrrev_b32_e32 v7, 9, v14
	v_and_b32_e32 v9, 0x1f8, v7
	ds_read_b64 v[6:7], v6 offset:1024
	v_fmac_f32_e32 v21, v11, v12
	v_add_u32_e32 v12, s6, v9
	ds_read_b64 v[8:9], v8 offset:16000
	ds_read_b64 v[10:11], v10 offset:512
	;; [unrolled: 1-line block ×3, first 2 shown]
	s_waitcnt lgkmcnt(3)
	v_mul_f32_e32 v24, v21, v7
	v_fma_f32 v24, v6, v0, -v24
	v_mul_f32_e32 v0, v0, v7
	v_fmac_f32_e32 v0, v6, v21
	v_mul_f32_e32 v6, v29, v0
	v_mul_f32_e32 v0, v25, v0
	v_fma_f32 v7, v29, v24, -v0
	s_waitcnt lgkmcnt(1)
	v_mul_f32_e32 v0, v9, v11
	v_fma_f32 v0, v8, v10, -v0
	v_mul_f32_e32 v8, v8, v11
	v_fmac_f32_e32 v8, v9, v10
	s_waitcnt lgkmcnt(0)
	v_mul_f32_e32 v10, v0, v13
	v_mul_f32_e32 v9, v8, v13
	v_fmac_f32_e32 v10, v12, v8
	v_fma_f32 v9, v12, v0, -v9
	v_mul_f32_e32 v0, v1, v10
	v_mul_f32_e32 v8, v33, v10
	v_add_u32_e32 v12, v14, v15
	v_fmac_f32_e32 v0, v33, v9
	v_fma_f32 v1, v1, v9, -v8
	v_lshrrev_b32_e32 v9, 3, v12
	v_and_b32_e32 v8, 63, v12
	v_and_b32_e32 v9, 0x1f8, v9
	v_lshl_add_u32 v8, v8, 3, 0
	v_add_u32_e32 v10, s6, v9
	v_lshrrev_b32_e32 v12, 9, v12
	ds_read_b64 v[8:9], v8 offset:16000
	ds_read_b64 v[10:11], v10 offset:512
	v_and_b32_e32 v12, 0x1f8, v12
	v_add_u32_e32 v12, s6, v12
	ds_read_b64 v[12:13], v12 offset:1024
	v_fmac_f32_e32 v6, v25, v24
	s_waitcnt lgkmcnt(1)
	v_mul_f32_e32 v14, v9, v11
	v_fma_f32 v14, v8, v10, -v14
	v_mul_f32_e32 v8, v8, v11
	v_fmac_f32_e32 v8, v9, v10
	s_waitcnt lgkmcnt(0)
	v_mul_f32_e32 v10, v14, v13
	v_mul_f32_e32 v9, v8, v13
	v_fmac_f32_e32 v10, v12, v8
	v_fma_f32 v9, v12, v14, -v9
	v_mul_f32_e32 v8, v23, v10
	v_mul_f32_e32 v10, v22, v10
	v_fmac_f32_e32 v8, v22, v9
	v_fma_f32 v9, v23, v9, -v10
	s_barrier
	ds_write2_b64 v20, v[2:3], v[4:5] offset1:40
	ds_write2_b64 v20, v[6:7], v[0:1] offset0:80 offset1:120
	ds_write_b64 v20, v[8:9] offset:1280
	s_waitcnt lgkmcnt(0)
	s_barrier
	s_and_saveexec_b64 s[6:7], s[0:1]
	s_cbranch_execz .LBB0_22
; %bb.21:
	v_mad_u64_u32 v[4:5], s[0:1], s18, v18, 0
	s_mul_i32 s5, s5, s8
	s_mul_hi_u32 s6, s4, s8
	s_add_i32 s1, s6, s5
	v_mad_u64_u32 v[6:7], s[6:7], s16, v16, 0
	v_mov_b32_e32 v0, v5
	v_mad_u64_u32 v[0:1], s[6:7], s19, v18, v[0:1]
	v_mov_b32_e32 v1, v7
	v_mad_u64_u32 v[1:2], s[6:7], s17, v16, v[1:2]
	s_movk_i32 s0, 0x640
	v_mul_lo_u32 v2, v18, s0
	s_mul_i32 s0, s4, s8
	s_lshl_b64 s[0:1], s[0:1], 3
	s_add_u32 s4, s22, s0
	v_mov_b32_e32 v5, v0
	s_addc_u32 s5, s23, s1
	s_lshl_b64 s[0:1], s[2:3], 3
	s_add_u32 s0, s4, s0
	v_lshlrev_b64 v[4:5], 3, v[4:5]
	s_addc_u32 s1, s5, s1
	v_mov_b32_e32 v7, v1
	v_mov_b32_e32 v8, s1
	v_add_co_u32_e32 v11, vcc, s0, v4
	v_addc_co_u32_e32 v12, vcc, v8, v5, vcc
	v_lshlrev_b64 v[4:5], 3, v[6:7]
	v_mad_u64_u32 v[6:7], s[0:1], s16, v17, 0
	v_add3_u32 v10, 0, v2, v19
	ds_read2_b64 v[0:3], v10 offset1:40
	v_mad_u64_u32 v[7:8], s[0:1], s17, v17, v[7:8]
	v_add_u32_e32 v13, 0x50, v16
	v_mad_u64_u32 v[8:9], s[0:1], s16, v13, 0
	v_add_co_u32_e32 v4, vcc, v11, v4
	v_addc_co_u32_e32 v5, vcc, v12, v5, vcc
	s_waitcnt lgkmcnt(0)
	global_store_dwordx2 v[4:5], v[0:1], off
	v_mov_b32_e32 v4, v9
	v_mad_u64_u32 v[4:5], s[0:1], s17, v13, v[4:5]
	v_lshlrev_b64 v[0:1], 3, v[6:7]
	v_add_u32_e32 v13, 0xa0, v16
	v_mov_b32_e32 v9, v4
	v_lshlrev_b64 v[4:5], 3, v[8:9]
	v_add_u32_e32 v8, 0x78, v16
	v_mad_u64_u32 v[6:7], s[0:1], s16, v8, 0
	v_add_co_u32_e32 v0, vcc, v11, v0
	v_addc_co_u32_e32 v1, vcc, v12, v1, vcc
	global_store_dwordx2 v[0:1], v[2:3], off
	ds_read2_b64 v[0:3], v10 offset0:80 offset1:120
	v_mad_u64_u32 v[7:8], s[0:1], s17, v8, v[7:8]
	v_mad_u64_u32 v[8:9], s[0:1], s16, v13, 0
	v_add_co_u32_e32 v4, vcc, v11, v4
	v_addc_co_u32_e32 v5, vcc, v12, v5, vcc
	s_waitcnt lgkmcnt(0)
	global_store_dwordx2 v[4:5], v[0:1], off
	v_mov_b32_e32 v4, v9
	v_lshlrev_b64 v[0:1], 3, v[6:7]
	v_mad_u64_u32 v[4:5], s[0:1], s17, v13, v[4:5]
	v_add_co_u32_e32 v0, vcc, v11, v0
	v_addc_co_u32_e32 v1, vcc, v12, v1, vcc
	global_store_dwordx2 v[0:1], v[2:3], off
	v_mov_b32_e32 v9, v4
	ds_read_b64 v[0:1], v10 offset:1280
	v_lshlrev_b64 v[2:3], 3, v[8:9]
	v_add_co_u32_e32 v2, vcc, v11, v2
	v_addc_co_u32_e32 v3, vcc, v12, v3, vcc
	s_waitcnt lgkmcnt(0)
	global_store_dwordx2 v[2:3], v[0:1], off
.LBB0_22:
	s_endpgm
	.section	.rodata,"a",@progbits
	.p2align	6, 0x0
	.amdhsa_kernel fft_rtc_back_len200_factors_5_8_5_wgs_400_tpt_40_sp_op_CI_CI_sbcc_twdbase6_3step
		.amdhsa_group_segment_fixed_size 0
		.amdhsa_private_segment_fixed_size 0
		.amdhsa_kernarg_size 112
		.amdhsa_user_sgpr_count 6
		.amdhsa_user_sgpr_private_segment_buffer 1
		.amdhsa_user_sgpr_dispatch_ptr 0
		.amdhsa_user_sgpr_queue_ptr 0
		.amdhsa_user_sgpr_kernarg_segment_ptr 1
		.amdhsa_user_sgpr_dispatch_id 0
		.amdhsa_user_sgpr_flat_scratch_init 0
		.amdhsa_user_sgpr_private_segment_size 0
		.amdhsa_uses_dynamic_stack 0
		.amdhsa_system_sgpr_private_segment_wavefront_offset 0
		.amdhsa_system_sgpr_workgroup_id_x 1
		.amdhsa_system_sgpr_workgroup_id_y 0
		.amdhsa_system_sgpr_workgroup_id_z 0
		.amdhsa_system_sgpr_workgroup_info 0
		.amdhsa_system_vgpr_workitem_id 0
		.amdhsa_next_free_vgpr 38
		.amdhsa_next_free_sgpr 55
		.amdhsa_reserve_vcc 1
		.amdhsa_reserve_flat_scratch 0
		.amdhsa_float_round_mode_32 0
		.amdhsa_float_round_mode_16_64 0
		.amdhsa_float_denorm_mode_32 3
		.amdhsa_float_denorm_mode_16_64 3
		.amdhsa_dx10_clamp 1
		.amdhsa_ieee_mode 1
		.amdhsa_fp16_overflow 0
		.amdhsa_exception_fp_ieee_invalid_op 0
		.amdhsa_exception_fp_denorm_src 0
		.amdhsa_exception_fp_ieee_div_zero 0
		.amdhsa_exception_fp_ieee_overflow 0
		.amdhsa_exception_fp_ieee_underflow 0
		.amdhsa_exception_fp_ieee_inexact 0
		.amdhsa_exception_int_div_zero 0
	.end_amdhsa_kernel
	.text
.Lfunc_end0:
	.size	fft_rtc_back_len200_factors_5_8_5_wgs_400_tpt_40_sp_op_CI_CI_sbcc_twdbase6_3step, .Lfunc_end0-fft_rtc_back_len200_factors_5_8_5_wgs_400_tpt_40_sp_op_CI_CI_sbcc_twdbase6_3step
                                        ; -- End function
	.section	.AMDGPU.csdata,"",@progbits
; Kernel info:
; codeLenInByte = 5268
; NumSgprs: 59
; NumVgprs: 38
; ScratchSize: 0
; MemoryBound: 0
; FloatMode: 240
; IeeeMode: 1
; LDSByteSize: 0 bytes/workgroup (compile time only)
; SGPRBlocks: 7
; VGPRBlocks: 9
; NumSGPRsForWavesPerEU: 59
; NumVGPRsForWavesPerEU: 38
; Occupancy: 6
; WaveLimiterHint : 1
; COMPUTE_PGM_RSRC2:SCRATCH_EN: 0
; COMPUTE_PGM_RSRC2:USER_SGPR: 6
; COMPUTE_PGM_RSRC2:TRAP_HANDLER: 0
; COMPUTE_PGM_RSRC2:TGID_X_EN: 1
; COMPUTE_PGM_RSRC2:TGID_Y_EN: 0
; COMPUTE_PGM_RSRC2:TGID_Z_EN: 0
; COMPUTE_PGM_RSRC2:TIDIG_COMP_CNT: 0
	.type	__hip_cuid_26e909687b209f1e,@object ; @__hip_cuid_26e909687b209f1e
	.section	.bss,"aw",@nobits
	.globl	__hip_cuid_26e909687b209f1e
__hip_cuid_26e909687b209f1e:
	.byte	0                               ; 0x0
	.size	__hip_cuid_26e909687b209f1e, 1

	.ident	"AMD clang version 19.0.0git (https://github.com/RadeonOpenCompute/llvm-project roc-6.4.0 25133 c7fe45cf4b819c5991fe208aaa96edf142730f1d)"
	.section	".note.GNU-stack","",@progbits
	.addrsig
	.addrsig_sym __hip_cuid_26e909687b209f1e
	.amdgpu_metadata
---
amdhsa.kernels:
  - .args:
      - .actual_access:  read_only
        .address_space:  global
        .offset:         0
        .size:           8
        .value_kind:     global_buffer
      - .address_space:  global
        .offset:         8
        .size:           8
        .value_kind:     global_buffer
      - .offset:         16
        .size:           8
        .value_kind:     by_value
      - .actual_access:  read_only
        .address_space:  global
        .offset:         24
        .size:           8
        .value_kind:     global_buffer
      - .actual_access:  read_only
        .address_space:  global
        .offset:         32
        .size:           8
        .value_kind:     global_buffer
      - .actual_access:  read_only
        .address_space:  global
        .offset:         40
        .size:           8
        .value_kind:     global_buffer
      - .offset:         48
        .size:           8
        .value_kind:     by_value
      - .actual_access:  read_only
        .address_space:  global
        .offset:         56
        .size:           8
        .value_kind:     global_buffer
      - .actual_access:  read_only
        .address_space:  global
        .offset:         64
        .size:           8
        .value_kind:     global_buffer
      - .offset:         72
        .size:           4
        .value_kind:     by_value
      - .actual_access:  read_only
        .address_space:  global
        .offset:         80
        .size:           8
        .value_kind:     global_buffer
      - .actual_access:  read_only
        .address_space:  global
        .offset:         88
        .size:           8
        .value_kind:     global_buffer
      - .actual_access:  read_only
        .address_space:  global
        .offset:         96
        .size:           8
        .value_kind:     global_buffer
      - .actual_access:  write_only
        .address_space:  global
        .offset:         104
        .size:           8
        .value_kind:     global_buffer
    .group_segment_fixed_size: 0
    .kernarg_segment_align: 8
    .kernarg_segment_size: 112
    .language:       OpenCL C
    .language_version:
      - 2
      - 0
    .max_flat_workgroup_size: 400
    .name:           fft_rtc_back_len200_factors_5_8_5_wgs_400_tpt_40_sp_op_CI_CI_sbcc_twdbase6_3step
    .private_segment_fixed_size: 0
    .sgpr_count:     59
    .sgpr_spill_count: 0
    .symbol:         fft_rtc_back_len200_factors_5_8_5_wgs_400_tpt_40_sp_op_CI_CI_sbcc_twdbase6_3step.kd
    .uniform_work_group_size: 1
    .uses_dynamic_stack: false
    .vgpr_count:     38
    .vgpr_spill_count: 0
    .wavefront_size: 64
amdhsa.target:   amdgcn-amd-amdhsa--gfx906
amdhsa.version:
  - 1
  - 2
...

	.end_amdgpu_metadata
